;; amdgpu-corpus repo=ROCm/rocFFT kind=compiled arch=gfx1030 opt=O3
	.text
	.amdgcn_target "amdgcn-amd-amdhsa--gfx1030"
	.amdhsa_code_object_version 6
	.protected	fft_rtc_back_len2560_factors_4_4_4_10_4_wgs_128_tpt_128_halfLds_sp_ip_CI_sbrr_dirReg ; -- Begin function fft_rtc_back_len2560_factors_4_4_4_10_4_wgs_128_tpt_128_halfLds_sp_ip_CI_sbrr_dirReg
	.globl	fft_rtc_back_len2560_factors_4_4_4_10_4_wgs_128_tpt_128_halfLds_sp_ip_CI_sbrr_dirReg
	.p2align	8
	.type	fft_rtc_back_len2560_factors_4_4_4_10_4_wgs_128_tpt_128_halfLds_sp_ip_CI_sbrr_dirReg,@function
fft_rtc_back_len2560_factors_4_4_4_10_4_wgs_128_tpt_128_halfLds_sp_ip_CI_sbrr_dirReg: ; @fft_rtc_back_len2560_factors_4_4_4_10_4_wgs_128_tpt_128_halfLds_sp_ip_CI_sbrr_dirReg
; %bb.0:
	s_clause 0x2
	s_load_dwordx2 s[14:15], s[4:5], 0x18
	s_load_dwordx4 s[8:11], s[4:5], 0x0
	s_load_dwordx2 s[12:13], s[4:5], 0x50
	v_mov_b32_e32 v3, 0
	v_mov_b32_e32 v1, 0
	v_mov_b32_e32 v5, s6
	v_mov_b32_e32 v2, 0
	v_mov_b32_e32 v6, v3
	s_waitcnt lgkmcnt(0)
	s_load_dwordx2 s[2:3], s[14:15], 0x0
	v_cmp_lt_u64_e64 s0, s[10:11], 2
	s_and_b32 vcc_lo, exec_lo, s0
	s_cbranch_vccnz .LBB0_8
; %bb.1:
	s_load_dwordx2 s[0:1], s[4:5], 0x10
	v_mov_b32_e32 v1, 0
	s_add_u32 s6, s14, 8
	v_mov_b32_e32 v2, 0
	s_addc_u32 s7, s15, 0
	s_mov_b64 s[18:19], 1
	s_waitcnt lgkmcnt(0)
	s_add_u32 s16, s0, 8
	s_addc_u32 s17, s1, 0
.LBB0_2:                                ; =>This Inner Loop Header: Depth=1
	s_load_dwordx2 s[20:21], s[16:17], 0x0
                                        ; implicit-def: $vgpr7_vgpr8
	s_mov_b32 s0, exec_lo
	s_waitcnt lgkmcnt(0)
	v_or_b32_e32 v4, s21, v6
	v_cmpx_ne_u64_e32 0, v[3:4]
	s_xor_b32 s1, exec_lo, s0
	s_cbranch_execz .LBB0_4
; %bb.3:                                ;   in Loop: Header=BB0_2 Depth=1
	v_cvt_f32_u32_e32 v4, s20
	v_cvt_f32_u32_e32 v7, s21
	s_sub_u32 s0, 0, s20
	s_subb_u32 s22, 0, s21
	v_fmac_f32_e32 v4, 0x4f800000, v7
	v_rcp_f32_e32 v4, v4
	v_mul_f32_e32 v4, 0x5f7ffffc, v4
	v_mul_f32_e32 v7, 0x2f800000, v4
	v_trunc_f32_e32 v7, v7
	v_fmac_f32_e32 v4, 0xcf800000, v7
	v_cvt_u32_f32_e32 v7, v7
	v_cvt_u32_f32_e32 v4, v4
	v_mul_lo_u32 v8, s0, v7
	v_mul_hi_u32 v9, s0, v4
	v_mul_lo_u32 v10, s22, v4
	v_add_nc_u32_e32 v8, v9, v8
	v_mul_lo_u32 v9, s0, v4
	v_add_nc_u32_e32 v8, v8, v10
	v_mul_hi_u32 v10, v4, v9
	v_mul_lo_u32 v11, v4, v8
	v_mul_hi_u32 v12, v4, v8
	v_mul_hi_u32 v13, v7, v9
	v_mul_lo_u32 v9, v7, v9
	v_mul_hi_u32 v14, v7, v8
	v_mul_lo_u32 v8, v7, v8
	v_add_co_u32 v10, vcc_lo, v10, v11
	v_add_co_ci_u32_e32 v11, vcc_lo, 0, v12, vcc_lo
	v_add_co_u32 v9, vcc_lo, v10, v9
	v_add_co_ci_u32_e32 v9, vcc_lo, v11, v13, vcc_lo
	v_add_co_ci_u32_e32 v10, vcc_lo, 0, v14, vcc_lo
	v_add_co_u32 v8, vcc_lo, v9, v8
	v_add_co_ci_u32_e32 v9, vcc_lo, 0, v10, vcc_lo
	v_add_co_u32 v4, vcc_lo, v4, v8
	v_add_co_ci_u32_e32 v7, vcc_lo, v7, v9, vcc_lo
	v_mul_hi_u32 v8, s0, v4
	v_mul_lo_u32 v10, s22, v4
	v_mul_lo_u32 v9, s0, v7
	v_add_nc_u32_e32 v8, v8, v9
	v_mul_lo_u32 v9, s0, v4
	v_add_nc_u32_e32 v8, v8, v10
	v_mul_hi_u32 v10, v4, v9
	v_mul_lo_u32 v11, v4, v8
	v_mul_hi_u32 v12, v4, v8
	v_mul_hi_u32 v13, v7, v9
	v_mul_lo_u32 v9, v7, v9
	v_mul_hi_u32 v14, v7, v8
	v_mul_lo_u32 v8, v7, v8
	v_add_co_u32 v10, vcc_lo, v10, v11
	v_add_co_ci_u32_e32 v11, vcc_lo, 0, v12, vcc_lo
	v_add_co_u32 v9, vcc_lo, v10, v9
	v_add_co_ci_u32_e32 v9, vcc_lo, v11, v13, vcc_lo
	v_add_co_ci_u32_e32 v10, vcc_lo, 0, v14, vcc_lo
	v_add_co_u32 v8, vcc_lo, v9, v8
	v_add_co_ci_u32_e32 v9, vcc_lo, 0, v10, vcc_lo
	v_add_co_u32 v4, vcc_lo, v4, v8
	v_add_co_ci_u32_e32 v11, vcc_lo, v7, v9, vcc_lo
	v_mul_hi_u32 v13, v5, v4
	v_mad_u64_u32 v[9:10], null, v6, v4, 0
	v_mad_u64_u32 v[7:8], null, v5, v11, 0
	;; [unrolled: 1-line block ×3, first 2 shown]
	v_add_co_u32 v4, vcc_lo, v13, v7
	v_add_co_ci_u32_e32 v7, vcc_lo, 0, v8, vcc_lo
	v_add_co_u32 v4, vcc_lo, v4, v9
	v_add_co_ci_u32_e32 v4, vcc_lo, v7, v10, vcc_lo
	v_add_co_ci_u32_e32 v7, vcc_lo, 0, v12, vcc_lo
	v_add_co_u32 v4, vcc_lo, v4, v11
	v_add_co_ci_u32_e32 v9, vcc_lo, 0, v7, vcc_lo
	v_mul_lo_u32 v10, s21, v4
	v_mad_u64_u32 v[7:8], null, s20, v4, 0
	v_mul_lo_u32 v11, s20, v9
	v_sub_co_u32 v7, vcc_lo, v5, v7
	v_add3_u32 v8, v8, v11, v10
	v_sub_nc_u32_e32 v10, v6, v8
	v_subrev_co_ci_u32_e64 v10, s0, s21, v10, vcc_lo
	v_add_co_u32 v11, s0, v4, 2
	v_add_co_ci_u32_e64 v12, s0, 0, v9, s0
	v_sub_co_u32 v13, s0, v7, s20
	v_sub_co_ci_u32_e32 v8, vcc_lo, v6, v8, vcc_lo
	v_subrev_co_ci_u32_e64 v10, s0, 0, v10, s0
	v_cmp_le_u32_e32 vcc_lo, s20, v13
	v_cmp_eq_u32_e64 s0, s21, v8
	v_cndmask_b32_e64 v13, 0, -1, vcc_lo
	v_cmp_le_u32_e32 vcc_lo, s21, v10
	v_cndmask_b32_e64 v14, 0, -1, vcc_lo
	v_cmp_le_u32_e32 vcc_lo, s20, v7
	;; [unrolled: 2-line block ×3, first 2 shown]
	v_cndmask_b32_e64 v15, 0, -1, vcc_lo
	v_cmp_eq_u32_e32 vcc_lo, s21, v10
	v_cndmask_b32_e64 v7, v15, v7, s0
	v_cndmask_b32_e32 v10, v14, v13, vcc_lo
	v_add_co_u32 v13, vcc_lo, v4, 1
	v_add_co_ci_u32_e32 v14, vcc_lo, 0, v9, vcc_lo
	v_cmp_ne_u32_e32 vcc_lo, 0, v10
	v_cndmask_b32_e32 v8, v14, v12, vcc_lo
	v_cndmask_b32_e32 v10, v13, v11, vcc_lo
	v_cmp_ne_u32_e32 vcc_lo, 0, v7
	v_cndmask_b32_e32 v8, v9, v8, vcc_lo
	v_cndmask_b32_e32 v7, v4, v10, vcc_lo
.LBB0_4:                                ;   in Loop: Header=BB0_2 Depth=1
	s_andn2_saveexec_b32 s0, s1
	s_cbranch_execz .LBB0_6
; %bb.5:                                ;   in Loop: Header=BB0_2 Depth=1
	v_cvt_f32_u32_e32 v4, s20
	s_sub_i32 s1, 0, s20
	v_rcp_iflag_f32_e32 v4, v4
	v_mul_f32_e32 v4, 0x4f7ffffe, v4
	v_cvt_u32_f32_e32 v4, v4
	v_mul_lo_u32 v7, s1, v4
	v_mul_hi_u32 v7, v4, v7
	v_add_nc_u32_e32 v4, v4, v7
	v_mul_hi_u32 v4, v5, v4
	v_mul_lo_u32 v7, v4, s20
	v_add_nc_u32_e32 v8, 1, v4
	v_sub_nc_u32_e32 v7, v5, v7
	v_subrev_nc_u32_e32 v9, s20, v7
	v_cmp_le_u32_e32 vcc_lo, s20, v7
	v_cndmask_b32_e32 v7, v7, v9, vcc_lo
	v_cndmask_b32_e32 v4, v4, v8, vcc_lo
	v_cmp_le_u32_e32 vcc_lo, s20, v7
	v_add_nc_u32_e32 v8, 1, v4
	v_cndmask_b32_e32 v7, v4, v8, vcc_lo
	v_mov_b32_e32 v8, v3
.LBB0_6:                                ;   in Loop: Header=BB0_2 Depth=1
	s_or_b32 exec_lo, exec_lo, s0
	s_load_dwordx2 s[0:1], s[6:7], 0x0
	v_mul_lo_u32 v4, v8, s20
	v_mul_lo_u32 v11, v7, s21
	v_mad_u64_u32 v[9:10], null, v7, s20, 0
	s_add_u32 s18, s18, 1
	s_addc_u32 s19, s19, 0
	s_add_u32 s6, s6, 8
	s_addc_u32 s7, s7, 0
	;; [unrolled: 2-line block ×3, first 2 shown]
	v_add3_u32 v4, v10, v11, v4
	v_sub_co_u32 v5, vcc_lo, v5, v9
	v_sub_co_ci_u32_e32 v4, vcc_lo, v6, v4, vcc_lo
	s_waitcnt lgkmcnt(0)
	v_mul_lo_u32 v6, s1, v5
	v_mul_lo_u32 v4, s0, v4
	v_mad_u64_u32 v[1:2], null, s0, v5, v[1:2]
	v_cmp_ge_u64_e64 s0, s[18:19], s[10:11]
	s_and_b32 vcc_lo, exec_lo, s0
	v_add3_u32 v2, v6, v2, v4
	s_cbranch_vccnz .LBB0_9
; %bb.7:                                ;   in Loop: Header=BB0_2 Depth=1
	v_mov_b32_e32 v5, v7
	v_mov_b32_e32 v6, v8
	s_branch .LBB0_2
.LBB0_8:
	v_mov_b32_e32 v8, v6
	v_mov_b32_e32 v7, v5
.LBB0_9:
	s_lshl_b64 s[0:1], s[10:11], 3
	v_or_b32_e32 v53, 0x80, v0
	s_add_u32 s0, s14, s0
	s_addc_u32 s1, s15, s1
	v_or_b32_e32 v52, 0x100, v0
	s_load_dwordx2 s[0:1], s[0:1], 0x0
	s_load_dwordx2 s[4:5], s[4:5], 0x20
	v_or_b32_e32 v50, 0x180, v0
	v_or_b32_e32 v43, 0x200, v0
                                        ; implicit-def: $vgpr62
                                        ; implicit-def: $vgpr64
                                        ; implicit-def: $vgpr63
                                        ; implicit-def: $vgpr65
	s_waitcnt lgkmcnt(0)
	v_mul_lo_u32 v3, s0, v8
	v_mul_lo_u32 v4, s1, v7
	v_mad_u64_u32 v[1:2], null, s0, v7, v[1:2]
	v_cmp_gt_u64_e32 vcc_lo, s[4:5], v[7:8]
	v_cmp_le_u64_e64 s0, s[4:5], v[7:8]
                                        ; implicit-def: $sgpr4_sgpr5
	v_add3_u32 v2, v4, v2, v3
	s_and_saveexec_b32 s1, s0
	s_xor_b32 s0, exec_lo, s1
; %bb.10:
	v_or_b32_e32 v62, 0x80, v0
	v_or_b32_e32 v64, 0x100, v0
	;; [unrolled: 1-line block ×4, first 2 shown]
	s_mov_b64 s[4:5], 0
; %bb.11:
	s_or_saveexec_b32 s1, s0
	v_mov_b32_e32 v14, s5
	v_lshlrev_b64 v[17:18], 3, v[1:2]
	v_mov_b32_e32 v34, s5
	v_mov_b32_e32 v30, s5
	;; [unrolled: 1-line block ×10, first 2 shown]
	v_or_b32_e32 v60, 0x280, v0
	v_or_b32_e32 v61, 0x500, v0
	;; [unrolled: 1-line block ×15, first 2 shown]
	v_mov_b32_e32 v33, s4
	v_mov_b32_e32 v29, s4
	;; [unrolled: 1-line block ×9, first 2 shown]
                                        ; implicit-def: $vgpr40
                                        ; implicit-def: $vgpr36
                                        ; implicit-def: $vgpr26
                                        ; implicit-def: $vgpr16
                                        ; implicit-def: $vgpr8
                                        ; implicit-def: $vgpr10
                                        ; implicit-def: $vgpr20
                                        ; implicit-def: $vgpr28
                                        ; implicit-def: $vgpr38
                                        ; implicit-def: $vgpr42
	s_xor_b32 exec_lo, exec_lo, s1
	s_cbranch_execz .LBB0_13
; %bb.12:
	v_mad_u64_u32 v[1:2], null, s2, v0, 0
	v_mad_u64_u32 v[3:4], null, s2, v60, 0
	;; [unrolled: 1-line block ×3, first 2 shown]
	v_add_co_u32 v79, s0, s12, v17
	v_add_co_ci_u32_e64 v80, s0, s13, v18, s0
	v_mad_u64_u32 v[7:8], null, s3, v0, v[2:3]
	v_mad_u64_u32 v[8:9], null, s2, v59, 0
	v_mov_b32_e32 v2, v6
	v_mad_u64_u32 v[10:11], null, s3, v60, v[4:5]
	v_mad_u64_u32 v[24:25], null, s2, v52, 0
	;; [unrolled: 1-line block ×4, first 2 shown]
	v_mov_b32_e32 v2, v7
	v_mov_b32_e32 v7, v9
	;; [unrolled: 1-line block ×3, first 2 shown]
	v_mad_u64_u32 v[26:27], null, s2, v55, 0
	v_lshlrev_b64 v[1:2], 3, v[1:2]
	v_mad_u64_u32 v[9:10], null, s3, v59, v[7:8]
	v_mov_b32_e32 v6, v11
	v_mad_u64_u32 v[10:11], null, s2, v57, 0
	v_mov_b32_e32 v7, v13
	v_lshlrev_b64 v[3:4], 3, v[3:4]
	v_add_co_u32 v1, s0, v79, v1
	v_lshlrev_b64 v[5:6], 3, v[5:6]
	v_mad_u64_u32 v[13:14], null, s3, v53, v[7:8]
	v_mad_u64_u32 v[14:15], null, s2, v58, 0
	v_lshlrev_b64 v[8:9], 3, v[8:9]
	v_add_co_ci_u32_e64 v2, s0, v80, v2, s0
	v_mov_b32_e32 v7, v11
	v_add_co_u32 v3, s0, v79, v3
	v_add_co_ci_u32_e64 v4, s0, v80, v4, s0
	v_add_co_u32 v5, s0, v79, v5
	v_mad_u64_u32 v[19:20], null, s3, v57, v[7:8]
	v_add_co_ci_u32_e64 v6, s0, v80, v6, s0
	v_mad_u64_u32 v[20:21], null, s2, v56, 0
	v_mov_b32_e32 v7, v15
	v_add_co_u32 v8, s0, v79, v8
	v_lshlrev_b64 v[12:13], 3, v[12:13]
	v_add_co_ci_u32_e64 v9, s0, v80, v9, s0
	v_mad_u64_u32 v[15:16], null, s3, v58, v[7:8]
	v_mov_b32_e32 v7, v21
	v_add_co_u32 v22, s0, v79, v12
	v_mov_b32_e32 v11, v19
	v_add_co_ci_u32_e64 v23, s0, v80, v13, s0
	v_mad_u64_u32 v[12:13], null, s3, v56, v[7:8]
	v_lshlrev_b64 v[13:14], 3, v[14:15]
	v_mad_u64_u32 v[15:16], null, s2, v54, 0
	v_mov_b32_e32 v7, v25
	v_lshlrev_b64 v[10:11], 3, v[10:11]
	v_mad_u64_u32 v[30:31], null, s2, v49, 0
	v_mov_b32_e32 v21, v12
	v_mad_u64_u32 v[28:29], null, s3, v52, v[7:8]
	v_mov_b32_e32 v7, v16
	v_add_co_u32 v10, s0, v79, v10
	v_add_co_ci_u32_e64 v11, s0, v80, v11, s0
	v_add_co_u32 v35, s0, v79, v13
	v_lshlrev_b64 v[12:13], 3, v[20:21]
	v_mad_u64_u32 v[19:20], null, s3, v54, v[7:8]
	v_add_co_ci_u32_e64 v36, s0, v80, v14, s0
	v_mov_b32_e32 v14, v27
	v_mov_b32_e32 v25, v28
	v_mad_u64_u32 v[28:29], null, s2, v51, 0
	v_add_co_u32 v37, s0, v79, v12
	v_mad_u64_u32 v[20:21], null, s3, v55, v[14:15]
	v_lshlrev_b64 v[24:25], 3, v[24:25]
	v_add_co_ci_u32_e64 v38, s0, v80, v13, s0
	v_mov_b32_e32 v16, v19
	v_mad_u64_u32 v[12:13], null, s2, v50, 0
	v_mov_b32_e32 v7, v29
	v_add_co_u32 v19, s0, v79, v24
	v_lshlrev_b64 v[14:15], 3, v[15:16]
	v_mov_b32_e32 v27, v20
	v_add_co_ci_u32_e64 v20, s0, v80, v25, s0
	v_mad_u64_u32 v[24:25], null, s3, v51, v[7:8]
	v_mov_b32_e32 v7, v13
	v_add_co_u32 v62, s0, v79, v14
	v_add_co_ci_u32_e64 v63, s0, v80, v15, s0
	v_mad_u64_u32 v[14:15], null, s3, v50, v[7:8]
	v_mad_u64_u32 v[15:16], null, s2, v48, 0
	v_mov_b32_e32 v13, v31
	v_mov_b32_e32 v29, v24
	v_lshlrev_b64 v[25:26], 3, v[26:27]
	v_mad_u64_u32 v[41:42], null, s2, v44, 0
	v_mad_u64_u32 v[31:32], null, s3, v49, v[13:14]
	v_mov_b32_e32 v7, v16
	v_mad_u64_u32 v[32:33], null, s2, v47, 0
	v_mov_b32_e32 v13, v14
	v_lshlrev_b64 v[27:28], 3, v[28:29]
	v_mad_u64_u32 v[39:40], null, s3, v48, v[7:8]
	v_add_co_u32 v25, s0, v79, v25
	v_lshlrev_b64 v[12:13], 3, v[12:13]
	v_add_co_ci_u32_e64 v26, s0, v80, v26, s0
	v_mov_b32_e32 v7, v33
	v_mov_b32_e32 v16, v39
	v_mad_u64_u32 v[39:40], null, s2, v43, 0
	v_add_co_u32 v27, s0, v79, v27
	v_add_co_ci_u32_e64 v28, s0, v80, v28, s0
	v_lshlrev_b64 v[29:30], 3, v[30:31]
	v_add_co_u32 v64, s0, v79, v12
	v_mad_u64_u32 v[33:34], null, s3, v47, v[7:8]
	v_add_co_ci_u32_e64 v65, s0, v80, v13, s0
	v_mad_u64_u32 v[12:13], null, s2, v46, 0
	v_mov_b32_e32 v7, v40
	v_lshlrev_b64 v[14:15], 3, v[15:16]
	v_add_co_u32 v66, s0, v79, v29
	v_add_co_ci_u32_e64 v67, s0, v80, v30, s0
	v_mad_u64_u32 v[29:30], null, s3, v43, v[7:8]
	v_lshlrev_b64 v[30:31], 3, v[32:33]
	v_mad_u64_u32 v[32:33], null, s3, v46, v[13:14]
	v_mad_u64_u32 v[33:34], null, s2, v45, 0
	v_add_co_u32 v68, s0, v79, v14
	v_mov_b32_e32 v40, v29
	v_add_co_ci_u32_e64 v69, s0, v80, v15, s0
	v_mov_b32_e32 v14, v42
	v_mov_b32_e32 v7, v34
	v_lshlrev_b64 v[15:16], 3, v[39:40]
	v_mov_b32_e32 v13, v32
	v_mad_u64_u32 v[39:40], null, s3, v45, v[7:8]
	v_mad_u64_u32 v[70:71], null, s3, v44, v[14:15]
	v_add_co_u32 v71, s0, v79, v30
	v_lshlrev_b64 v[12:13], 3, v[12:13]
	v_add_co_ci_u32_e64 v72, s0, v80, v31, s0
	v_mov_b32_e32 v34, v39
	v_add_co_u32 v73, s0, v79, v15
	v_mov_b32_e32 v42, v70
	v_add_co_ci_u32_e64 v74, s0, v80, v16, s0
	v_lshlrev_b64 v[14:15], 3, v[33:34]
	v_add_co_u32 v75, s0, v79, v12
	v_add_co_ci_u32_e64 v76, s0, v80, v13, s0
	v_lshlrev_b64 v[12:13], 3, v[41:42]
	v_add_co_u32 v77, s0, v79, v14
	v_add_co_ci_u32_e64 v78, s0, v80, v15, s0
	v_add_co_u32 v79, s0, v79, v12
	v_add_co_ci_u32_e64 v80, s0, v80, v13, s0
	s_clause 0x13
	global_load_dwordx2 v[13:14], v[1:2], off
	global_load_dwordx2 v[33:34], v[3:4], off
	;; [unrolled: 1-line block ×20, first 2 shown]
	v_mov_b32_e32 v65, v43
	v_mov_b32_e32 v63, v50
	;; [unrolled: 1-line block ×4, first 2 shown]
.LBB0_13:
	s_or_b32 exec_lo, exec_lo, s1
	s_waitcnt vmcnt(17)
	v_sub_f32_e32 v40, v14, v40
	s_waitcnt vmcnt(16)
	v_sub_f32_e32 v42, v34, v42
	v_sub_f32_e32 v39, v13, v39
	;; [unrolled: 1-line block ×3, first 2 shown]
	s_waitcnt vmcnt(13)
	v_sub_f32_e32 v68, v29, v35
	v_fma_f32 v67, v14, 2.0, -v40
	v_fma_f32 v14, v34, 2.0, -v42
	v_sub_f32_e32 v69, v30, v36
	s_waitcnt vmcnt(12)
	v_sub_f32_e32 v36, v31, v37
	v_fma_f32 v66, v13, 2.0, -v39
	v_fma_f32 v13, v33, 2.0, -v41
	v_sub_f32_e32 v33, v67, v14
	v_fma_f32 v71, v29, 2.0, -v68
	v_fma_f32 v72, v30, 2.0, -v69
	;; [unrolled: 1-line block ×3, first 2 shown]
	v_add_f32_e32 v14, v39, v42
	v_sub_f32_e32 v34, v40, v41
	s_waitcnt vmcnt(9)
	v_sub_f32_e32 v25, v21, v25
	s_waitcnt vmcnt(8)
	v_sub_f32_e32 v27, v23, v27
	v_sub_f32_e32 v26, v22, v26
	;; [unrolled: 1-line block ×5, first 2 shown]
	v_fma_f32 v30, v39, 2.0, -v14
	v_fma_f32 v38, v40, 2.0, -v34
	;; [unrolled: 1-line block ×6, first 2 shown]
	s_waitcnt vmcnt(5)
	v_sub_f32_e32 v40, v5, v15
	s_waitcnt vmcnt(4)
	v_sub_f32_e32 v24, v11, v19
	v_sub_f32_e32 v21, v39, v21
	v_sub_f32_e32 v42, v12, v20
	v_sub_f32_e32 v15, v23, v22
	v_fma_f32 v41, v5, 2.0, -v40
	v_fma_f32 v5, v11, 2.0, -v24
	;; [unrolled: 1-line block ×3, first 2 shown]
	v_sub_f32_e32 v39, v6, v16
	v_add_f32_e32 v22, v25, v28
	v_sub_f32_e32 v16, v26, v27
	v_sub_f32_e32 v5, v41, v5
	s_waitcnt vmcnt(1)
	v_sub_f32_e32 v28, v1, v7
	v_fma_f32 v27, v6, 2.0, -v39
	v_fma_f32 v6, v12, 2.0, -v42
	;; [unrolled: 1-line block ×4, first 2 shown]
	v_sub_f32_e32 v41, v2, v8
	s_waitcnt vmcnt(0)
	v_sub_f32_e32 v8, v3, v9
	v_sub_f32_e32 v9, v4, v10
	v_fma_f32 v32, v32, 2.0, -v70
	v_fma_f32 v11, v23, 2.0, -v15
	v_sub_f32_e32 v23, v27, v6
	v_add_f32_e32 v6, v40, v42
	v_fma_f32 v10, v1, 2.0, -v28
	v_fma_f32 v42, v2, 2.0, -v41
	;; [unrolled: 1-line block ×4, first 2 shown]
	v_sub_f32_e32 v13, v66, v13
	v_sub_f32_e32 v35, v72, v32
	v_add_f32_e32 v32, v68, v70
	v_sub_f32_e32 v3, v10, v2
	v_sub_f32_e32 v7, v42, v4
	v_add_f32_e32 v4, v28, v9
	v_sub_f32_e32 v8, v41, v8
	v_fma_f32 v29, v66, 2.0, -v13
	v_fma_f32 v37, v67, 2.0, -v33
	;; [unrolled: 1-line block ×5, first 2 shown]
	v_sub_f32_e32 v24, v39, v24
	v_fma_f32 v26, v40, 2.0, -v6
	v_fma_f32 v9, v10, 2.0, -v3
	;; [unrolled: 1-line block ×3, first 2 shown]
	v_lshl_add_u32 v77, v0, 4, 0
	v_lshl_add_u32 v40, v62, 4, 0
	;; [unrolled: 1-line block ×3, first 2 shown]
	v_and_b32_e32 v78, 3, v0
	v_sub_f32_e32 v36, v69, v36
	v_fma_f32 v28, v41, 2.0, -v8
	v_lshl_add_u32 v41, v64, 4, 0
	v_fma_f32 v1, v27, 2.0, -v23
	v_fma_f32 v27, v42, 2.0, -v7
	v_lshl_add_u32 v42, v63, 4, 0
	v_fma_f32 v2, v39, 2.0, -v24
	ds_write2_b64 v77, v[29:30], v[13:14] offset1:1
	ds_write2_b64 v40, v[67:68], v[31:32] offset1:1
	;; [unrolled: 1-line block ×4, first 2 shown]
	v_mad_i32_i24 v39, v0, -12, v77
	ds_write2_b64 v66, v[9:10], v[3:4] offset1:1
	v_mad_i32_i24 v67, v62, -12, v40
	v_mul_u32_u24_e32 v3, 3, v78
	v_fma_f32 v71, v72, 2.0, -v35
	v_fma_f32 v72, v69, 2.0, -v36
	v_mad_i32_i24 v68, v64, -12, v41
	v_mad_i32_i24 v69, v63, -12, v42
	;; [unrolled: 1-line block ×3, first 2 shown]
	s_waitcnt lgkmcnt(0)
	s_barrier
	buffer_gl0_inv
	ds_read2st64_b32 v[13:14], v39 offset1:10
	ds_read2st64_b32 v[19:20], v39 offset0:20 offset1:22
	ds_read2st64_b32 v[21:22], v39 offset0:28 offset1:30
	ds_read2st64_b32 v[25:26], v39 offset0:12 offset1:14
	ds_read2st64_b32 v[29:30], v39 offset0:32 offset1:34
	ds_read2st64_b32 v[31:32], v39 offset0:24 offset1:26
	ds_read2st64_b32 v[73:74], v39 offset0:16 offset1:18
	ds_read2st64_b32 v[75:76], v39 offset0:36 offset1:38
	ds_read_b32 v79, v67
	ds_read_b32 v80, v68
	;; [unrolled: 1-line block ×4, first 2 shown]
	s_waitcnt lgkmcnt(0)
	s_barrier
	buffer_gl0_inv
	ds_write2_b64 v77, v[37:38], v[33:34] offset1:1
	ds_write2_b64 v40, v[71:72], v[35:36] offset1:1
	;; [unrolled: 1-line block ×4, first 2 shown]
	v_lshlrev_b32_e32 v1, 3, v3
	ds_write2_b64 v66, v[27:28], v[7:8] offset1:1
	s_waitcnt lgkmcnt(0)
	s_barrier
	buffer_gl0_inv
	s_clause 0x1
	global_load_dwordx4 v[6:9], v1, s[8:9]
	global_load_dwordx2 v[10:11], v1, s[8:9] offset:16
	v_lshlrev_b32_e32 v2, 2, v62
	v_lshlrev_b32_e32 v3, 2, v64
	;; [unrolled: 1-line block ×5, first 2 shown]
	v_and_b32_e32 v83, 15, v0
	v_and_or_b32 v23, 0x3f0, v2, v78
	v_and_or_b32 v24, 0x5f0, v3, v78
	v_and_or_b32 v12, 0x1f0, v1, v78
	v_and_or_b32 v27, 0x7f0, v4, v78
	v_and_or_b32 v28, 0x9f0, v5, v78
	v_mul_u32_u24_e32 v33, 3, v83
	ds_read2st64_b32 v[15:16], v39 offset0:20 offset1:22
	v_lshl_add_u32 v85, v23, 2, 0
	v_lshl_add_u32 v86, v24, 2, 0
	ds_read2st64_b32 v[23:24], v39 offset0:12 offset1:14
	v_lshl_add_u32 v84, v12, 2, 0
	v_lshl_add_u32 v87, v27, 2, 0
	;; [unrolled: 1-line block ×3, first 2 shown]
	v_lshlrev_b32_e32 v89, 3, v33
	ds_read2st64_b32 v[27:28], v39 offset1:10
	ds_read2st64_b32 v[33:34], v39 offset0:24 offset1:26
	ds_read2st64_b32 v[35:36], v39 offset0:28 offset1:30
	ds_read2st64_b32 v[37:38], v39 offset0:32 offset1:34
	ds_read2st64_b32 v[71:72], v39 offset0:16 offset1:18
	ds_read2st64_b32 v[77:78], v39 offset0:36 offset1:38
	ds_read_b32 v12, v67
	ds_read_b32 v90, v68
	;; [unrolled: 1-line block ×4, first 2 shown]
	s_waitcnt vmcnt(0) lgkmcnt(0)
	s_barrier
	buffer_gl0_inv
	v_and_or_b32 v1, 0x1c0, v1, v83
	v_and_or_b32 v5, 0x9c0, v5, v83
	v_lshl_add_u32 v5, v5, 2, 0
	v_mul_f32_e32 v93, v15, v9
	v_mul_f32_e32 v94, v16, v9
	;; [unrolled: 1-line block ×30, first 2 shown]
	v_fmac_f32_e32 v93, v19, v8
	v_fmac_f32_e32 v94, v20, v8
	v_fma_f32 v15, v15, v8, -v95
	v_fma_f32 v16, v16, v8, -v96
	v_fmac_f32_e32 v97, v25, v6
	v_fmac_f32_e32 v98, v26, v6
	v_fma_f32 v19, v23, v6, -v99
	v_fma_f32 v20, v24, v6, -v100
	;; [unrolled: 4-line block ×4, first 2 shown]
	v_fmac_f32_e32 v109, v14, v6
	v_fma_f32 v6, v28, v6, -v7
	v_fmac_f32_e32 v110, v21, v8
	v_fma_f32 v7, v35, v8, -v9
	v_fma_f32 v8, v36, v10, -v112
	v_fmac_f32_e32 v111, v22, v10
	v_fmac_f32_e32 v113, v29, v10
	v_fma_f32 v9, v37, v10, -v114
	v_fmac_f32_e32 v115, v30, v10
	v_fma_f32 v14, v38, v10, -v116
	v_fmac_f32_e32 v117, v75, v10
	v_fma_f32 v21, v77, v10, -v118
	v_fmac_f32_e32 v119, v76, v10
	v_fma_f32 v10, v78, v10, -v11
	v_sub_f32_e32 v15, v27, v15
	v_sub_f32_e32 v8, v6, v8
	;; [unrolled: 1-line block ×20, first 2 shown]
	v_fma_f32 v27, v27, 2.0, -v15
	v_fma_f32 v6, v6, 2.0, -v8
	;; [unrolled: 1-line block ×4, first 2 shown]
	v_sub_f32_e32 v37, v15, v22
	v_fma_f32 v22, v79, 2.0, -v28
	v_fma_f32 v12, v12, 2.0, -v16
	;; [unrolled: 1-line block ×4, first 2 shown]
	v_add_f32_e32 v9, v28, v9
	v_fma_f32 v71, v80, 2.0, -v30
	v_fma_f32 v72, v90, 2.0, -v23
	v_fma_f32 v73, v98, 2.0, -v31
	v_fma_f32 v20, v20, 2.0, -v14
	v_add_f32_e32 v14, v30, v14
	v_sub_f32_e32 v31, v23, v31
	v_fma_f32 v74, v81, 2.0, -v32
	v_fma_f32 v76, v105, 2.0, -v33
	v_fma_f32 v75, v91, 2.0, -v24
	v_fma_f32 v25, v25, 2.0, -v21
	v_add_f32_e32 v21, v32, v21
	v_sub_f32_e32 v33, v24, v33
	;; [unrolled: 6-line block ×3, first 2 shown]
	v_add_f32_e32 v8, v11, v8
	v_sub_f32_e32 v36, v13, v36
	v_sub_f32_e32 v29, v16, v29
	v_fma_f32 v80, v15, 2.0, -v37
	v_sub_f32_e32 v15, v22, v38
	v_sub_f32_e32 v38, v12, v19
	;; [unrolled: 1-line block ×3, first 2 shown]
	v_fma_f32 v19, v28, 2.0, -v9
	v_sub_f32_e32 v28, v71, v73
	v_sub_f32_e32 v73, v72, v20
	v_fma_f32 v20, v30, 2.0, -v14
	v_fma_f32 v30, v23, 2.0, -v31
	v_sub_f32_e32 v23, v74, v76
	v_sub_f32_e32 v76, v75, v25
	v_fma_f32 v25, v32, 2.0, -v21
	;; [unrolled: 4-line block ×3, first 2 shown]
	v_fma_f32 v34, v27, 2.0, -v6
	v_fma_f32 v11, v11, 2.0, -v8
	;; [unrolled: 1-line block ×13, first 2 shown]
	ds_write2_b32 v84, v36, v8 offset0:8 offset1:12
	ds_write2_b32 v84, v13, v11 offset1:4
	ds_write2_b32 v85, v22, v19 offset1:4
	ds_write2_b32 v85, v15, v9 offset0:8 offset1:12
	ds_write2_b32 v86, v12, v20 offset1:4
	ds_write2_b32 v86, v28, v14 offset0:8 offset1:12
	;; [unrolled: 2-line block ×4, first 2 shown]
	s_waitcnt lgkmcnt(0)
	s_barrier
	buffer_gl0_inv
	ds_read2st64_b32 v[10:11], v39 offset1:10
	ds_read2st64_b32 v[12:13], v39 offset0:20 offset1:22
	ds_read2st64_b32 v[14:15], v39 offset0:28 offset1:30
	;; [unrolled: 1-line block ×7, first 2 shown]
	ds_read_b32 v77, v67
	ds_read_b32 v78, v68
	;; [unrolled: 1-line block ×4, first 2 shown]
	s_waitcnt lgkmcnt(0)
	s_barrier
	buffer_gl0_inv
	ds_write2_b32 v84, v34, v80 offset1:4
	ds_write2_b32 v84, v6, v37 offset0:8 offset1:12
	ds_write2_b32 v85, v81, v16 offset1:4
	ds_write2_b32 v85, v38, v29 offset0:8 offset1:12
	;; [unrolled: 2-line block ×5, first 2 shown]
	s_waitcnt lgkmcnt(0)
	s_barrier
	buffer_gl0_inv
	s_clause 0x1
	global_load_dwordx4 v[6:9], v89, s[8:9] offset:96
	global_load_dwordx2 v[29:30], v89, s[8:9] offset:112
	v_and_b32_e32 v37, 63, v0
	v_and_or_b32 v33, 0x7c0, v4, v83
	v_and_or_b32 v31, 0x5c0, v3, v83
	;; [unrolled: 1-line block ×3, first 2 shown]
	v_lshl_add_u32 v38, v1, 2, 0
	v_mul_u32_u24_e32 v35, 9, v37
	ds_read2st64_b32 v[1:2], v39 offset1:10
	ds_read2st64_b32 v[3:4], v39 offset0:20 offset1:22
	v_lshl_add_u32 v80, v33, 2, 0
	ds_read2st64_b32 v[33:34], v39 offset0:12 offset1:14
	v_lshl_add_u32 v79, v31, 2, 0
	ds_read2st64_b32 v[31:32], v39 offset0:28 offset1:30
	v_lshlrev_b32_e32 v81, 3, v35
	ds_read2st64_b32 v[35:36], v39 offset0:32 offset1:34
	ds_read2st64_b32 v[71:72], v39 offset0:24 offset1:26
	;; [unrolled: 1-line block ×4, first 2 shown]
	ds_read_b32 v83, v67
	ds_read_b32 v84, v68
	;; [unrolled: 1-line block ×4, first 2 shown]
	v_lshl_add_u32 v16, v16, 2, 0
	s_waitcnt vmcnt(0) lgkmcnt(0)
	s_barrier
	buffer_gl0_inv
	v_mul_f32_e32 v87, v2, v7
	v_mul_f32_e32 v88, v11, v7
	;; [unrolled: 1-line block ×30, first 2 shown]
	v_fmac_f32_e32 v89, v12, v8
	v_fmac_f32_e32 v93, v13, v8
	v_fma_f32 v3, v3, v8, -v91
	v_fmac_f32_e32 v95, v19, v6
	v_fmac_f32_e32 v98, v20, v6
	v_fma_f32 v12, v33, v6, -v97
	v_fma_f32 v13, v34, v6, -v100
	v_fmac_f32_e32 v103, v23, v8
	v_fmac_f32_e32 v107, v25, v6
	v_fmac_f32_e32 v110, v26, v6
	v_fma_f32 v23, v73, v6, -v109
	v_fma_f32 v7, v74, v6, -v7
	v_fmac_f32_e32 v87, v11, v6
	v_fma_f32 v2, v2, v6, -v88
	v_fma_f32 v6, v32, v29, -v94
	v_fmac_f32_e32 v92, v15, v29
	v_fma_f32 v4, v4, v8, -v96
	v_fmac_f32_e32 v99, v21, v29
	;; [unrolled: 2-line block ×4, first 2 shown]
	v_fma_f32 v21, v71, v8, -v105
	v_fma_f32 v22, v72, v8, -v108
	v_fmac_f32_e32 v113, v14, v8
	v_fmac_f32_e32 v111, v27, v29
	;; [unrolled: 1-line block ×3, first 2 shown]
	v_fma_f32 v11, v75, v29, -v112
	v_fma_f32 v8, v31, v8, -v9
	;; [unrolled: 1-line block ×3, first 2 shown]
	v_sub_f32_e32 v3, v1, v3
	v_sub_f32_e32 v6, v2, v6
	;; [unrolled: 1-line block ×20, first 2 shown]
	v_fma_f32 v1, v1, 2.0, -v3
	v_fma_f32 v2, v2, 2.0, -v6
	;; [unrolled: 1-line block ×8, first 2 shown]
	v_sub_f32_e32 v36, v4, v25
	v_fma_f32 v25, v78, 2.0, -v26
	v_fma_f32 v71, v84, 2.0, -v21
	v_fma_f32 v72, v98, 2.0, -v27
	v_fma_f32 v13, v13, 2.0, -v20
	v_sub_f32_e32 v75, v21, v27
	v_fma_f32 v27, v82, 2.0, -v28
	v_fma_f32 v74, v107, 2.0, -v29
	v_sub_f32_e32 v76, v22, v29
	v_fma_f32 v29, v90, 2.0, -v30
	v_fma_f32 v78, v110, 2.0, -v31
	;; [unrolled: 3-line block ×3, first 2 shown]
	v_fma_f32 v77, v86, 2.0, -v8
	v_fma_f32 v7, v7, 2.0, -v9
	v_sub_f32_e32 v2, v1, v2
	v_add_f32_e32 v6, v14, v6
	v_sub_f32_e32 v82, v8, v31
	v_sub_f32_e32 v31, v10, v32
	v_add_f32_e32 v19, v24, v19
	v_add_f32_e32 v11, v28, v11
	;; [unrolled: 1-line block ×3, first 2 shown]
	v_sub_f32_e32 v32, v33, v35
	v_sub_f32_e32 v12, v34, v12
	v_add_f32_e32 v20, v26, v20
	v_sub_f32_e32 v35, v25, v72
	v_sub_f32_e32 v13, v71, v13
	v_fma_f32 v83, v21, 2.0, -v75
	v_sub_f32_e32 v21, v27, v74
	v_fma_f32 v85, v22, 2.0, -v76
	;; [unrolled: 2-line block ×3, first 2 shown]
	v_sub_f32_e32 v84, v73, v23
	v_sub_f32_e32 v7, v77, v7
	v_fma_f32 v1, v1, 2.0, -v2
	v_fma_f32 v14, v14, 2.0, -v6
	;; [unrolled: 1-line block ×17, first 2 shown]
	ds_write2_b32 v38, v31, v6 offset0:32 offset1:48
	ds_write2_b32 v38, v10, v14 offset1:16
	ds_write2_b32 v16, v30, v24 offset1:16
	ds_write2_b32 v16, v32, v19 offset0:32 offset1:48
	ds_write2_b32 v79, v25, v26 offset1:16
	ds_write2_b32 v79, v35, v20 offset0:32 offset1:48
	;; [unrolled: 2-line block ×4, first 2 shown]
	s_waitcnt lgkmcnt(0)
	s_barrier
	buffer_gl0_inv
	ds_read2st64_b32 v[19:20], v39 offset1:6
	ds_read2st64_b32 v[33:34], v39 offset0:10 offset1:12
	ds_read2st64_b32 v[31:32], v39 offset0:14 offset1:16
	;; [unrolled: 1-line block ×7, first 2 shown]
	ds_read_b32 v73, v70
	ds_read_b32 v74, v68
	;; [unrolled: 1-line block ×3, first 2 shown]
	ds_read_b32 v72, v39 offset:9728
	s_waitcnt lgkmcnt(0)
	s_barrier
	buffer_gl0_inv
	ds_write2_b32 v38, v1, v3 offset1:16
	ds_write2_b32 v38, v2, v15 offset0:32 offset1:48
	ds_write2_b32 v16, v78, v4 offset1:16
	ds_write2_b32 v16, v12, v36 offset0:32 offset1:48
	;; [unrolled: 2-line block ×5, first 2 shown]
	s_waitcnt lgkmcnt(0)
	s_barrier
	buffer_gl0_inv
	s_clause 0x4
	global_load_dwordx4 v[13:16], v81, s[8:9] offset:480
	global_load_dwordx4 v[9:12], v81, s[8:9] offset:496
	;; [unrolled: 1-line block ×4, first 2 shown]
	global_load_dwordx2 v[35:36], v81, s[8:9] offset:544
	v_lshrrev_b32_e32 v38, 6, v62
	v_lshrrev_b32_e32 v75, 6, v0
	ds_read_b32 v89, v68
	ds_read_b32 v90, v70
	v_mul_lo_u32 v38, 0x280, v38
	v_mul_u32_u24_e32 v75, 0x280, v75
	v_or_b32_e32 v77, v75, v37
	v_or_b32_e32 v78, v38, v37
	ds_read2st64_b32 v[37:38], v39 offset1:6
	ds_read2st64_b32 v[75:76], v39 offset0:10 offset1:12
	v_lshl_add_u32 v91, v77, 2, 0
	v_lshl_add_u32 v92, v78, 2, 0
	ds_read2st64_b32 v[77:78], v39 offset0:14 offset1:16
	ds_read2st64_b32 v[79:80], v39 offset0:18 offset1:20
	;; [unrolled: 1-line block ×6, first 2 shown]
	ds_read_b32 v93, v67
	ds_read_b32 v94, v39 offset:9728
	s_waitcnt vmcnt(0) lgkmcnt(0)
	s_barrier
	buffer_gl0_inv
	v_mul_f32_e32 v95, v89, v14
	v_mul_f32_e32 v97, v90, v16
	;; [unrolled: 1-line block ×34, first 2 shown]
	v_fmac_f32_e32 v95, v74, v13
	v_mul_f32_e32 v74, v94, v36
	v_mul_f32_e32 v36, v72, v36
	v_fmac_f32_e32 v97, v73, v15
	v_fmac_f32_e32 v103, v32, v11
	;; [unrolled: 1-line block ×4, first 2 shown]
	v_fma_f32 v89, v89, v13, -v96
	v_fma_f32 v73, v90, v15, -v98
	v_fmac_f32_e32 v99, v20, v13
	v_fma_f32 v13, v38, v13, -v14
	v_fmac_f32_e32 v100, v33, v15
	;; [unrolled: 2-line block ×4, first 2 shown]
	v_fma_f32 v16, v78, v11, -v105
	v_fma_f32 v9, v77, v9, -v10
	v_fmac_f32_e32 v106, v29, v11
	v_fma_f32 v10, v79, v11, -v12
	v_fmac_f32_e32 v107, v30, v5
	;; [unrolled: 2-line block ×3, first 2 shown]
	v_fma_f32 v12, v82, v7, -v110
	v_fma_f32 v5, v81, v5, -v6
	v_fmac_f32_e32 v116, v25, v7
	v_fma_f32 v6, v83, v7, -v8
	v_fma_f32 v7, v84, v1, -v112
	;; [unrolled: 1-line block ×3, first 2 shown]
	v_fmac_f32_e32 v111, v26, v1
	v_fmac_f32_e32 v117, v22, v35
	v_fma_f32 v20, v88, v35, -v118
	v_fmac_f32_e32 v119, v23, v1
	v_fma_f32 v1, v85, v1, -v2
	;; [unrolled: 2-line block ×3, first 2 shown]
	v_fma_f32 v3, v94, v35, -v36
	v_add_f32_e32 v21, v103, v109
	v_add_f32_e32 v24, v97, v113
	v_sub_f32_e32 v25, v103, v97
	v_sub_f32_e32 v26, v109, v113
	v_add_f32_e32 v28, v16, v12
	v_sub_f32_e32 v29, v73, v16
	v_sub_f32_e32 v30, v8, v12
	;; [unrolled: 3-line block ×4, first 2 shown]
	v_add_f32_e32 v80, v15, v20
	v_fmac_f32_e32 v74, v72, v35
	v_add_f32_e32 v4, v19, v97
	v_sub_f32_e32 v84, v100, v106
	v_sub_f32_e32 v85, v120, v116
	v_fma_f32 v21, -0.5, v21, v19
	v_fmac_f32_e32 v19, -0.5, v24
	v_add_f32_e32 v24, v5, v1
	v_add_f32_e32 v25, v25, v26
	v_add_f32_e32 v26, v9, v3
	v_add_f32_e32 v27, v37, v73
	v_add_f32_e32 v34, v95, v101
	v_add_f32_e32 v35, v107, v111
	v_sub_f32_e32 v36, v101, v107
	v_add_f32_e32 v72, v101, v117
	v_sub_f32_e32 v78, v15, v11
	v_sub_f32_e32 v79, v20, v7
	v_sub_f32_e32 v81, v11, v15
	v_sub_f32_e32 v82, v7, v20
	v_add_f32_e32 v83, v89, v15
	v_add_f32_e32 v86, v106, v116
	v_add_f32_e32 v87, v100, v120
	v_add_f32_e32 v108, v93, v14
	v_add_f32_e32 v123, v99, v104
	v_add_f32_e32 v29, v29, v30
	v_add_f32_e32 v30, v13, v9
	v_fma_f32 v28, -0.5, v28, v37
	v_fmac_f32_e32 v37, -0.5, v31
	v_sub_f32_e32 v31, v5, v9
	v_add_f32_e32 v32, v32, v33
	v_sub_f32_e32 v33, v1, v3
	v_fma_f32 v77, -0.5, v77, v89
	v_sub_f32_e32 v101, v101, v117
	v_add_f32_e32 v88, v71, v100
	v_add_f32_e32 v75, v75, v76
	v_sub_f32_e32 v76, v107, v111
	v_fmac_f32_e32 v89, -0.5, v80
	v_sub_f32_e32 v22, v97, v103
	v_sub_f32_e32 v23, v113, v109
	;; [unrolled: 1-line block ×6, first 2 shown]
	v_add_f32_e32 v102, v10, v6
	v_add_f32_e32 v105, v14, v2
	v_sub_f32_e32 v110, v10, v14
	v_sub_f32_e32 v112, v6, v2
	;; [unrolled: 1-line block ×3, first 2 shown]
	v_add_f32_e32 v121, v114, v119
	v_add_f32_e32 v122, v104, v74
	v_sub_f32_e32 v124, v114, v104
	v_add_f32_e32 v84, v84, v85
	v_sub_f32_e32 v85, v114, v119
	v_sub_f32_e32 v104, v104, v74
	v_fma_f32 v24, -0.5, v24, v13
	v_fmac_f32_e32 v13, -0.5, v26
	v_sub_f32_e32 v126, v9, v5
	v_fma_f32 v35, -0.5, v35, v95
	v_add_f32_e32 v78, v78, v79
	v_sub_f32_e32 v79, v11, v7
	v_add_f32_e32 v81, v81, v82
	v_sub_f32_e32 v82, v10, v6
	v_fma_f32 v86, -0.5, v86, v71
	v_fmac_f32_e32 v71, -0.5, v87
	v_sub_f32_e32 v87, v5, v1
	v_sub_f32_e32 v15, v15, v20
	v_add_f32_e32 v26, v31, v33
	v_add_f32_e32 v11, v83, v11
	;; [unrolled: 1-line block ×5, first 2 shown]
	v_fmamk_f32 v83, v101, 0x3f737871, v77
	v_sub_f32_e32 v38, v117, v111
	v_fmac_f32_e32 v95, -0.5, v72
	v_sub_f32_e32 v72, v16, v12
	v_sub_f32_e32 v97, v97, v113
	v_add_f32_e32 v16, v27, v16
	v_add_f32_e32 v27, v34, v107
	;; [unrolled: 1-line block ×3, first 2 shown]
	v_fmamk_f32 v88, v76, 0xbf737871, v89
	v_fmac_f32_e32 v89, 0x3f737871, v76
	v_fmac_f32_e32 v77, 0xbf737871, v101
	v_add_f32_e32 v22, v22, v23
	v_sub_f32_e32 v23, v3, v1
	v_sub_f32_e32 v73, v73, v8
	;; [unrolled: 1-line block ×3, first 2 shown]
	v_add_f32_e32 v90, v90, v94
	v_add_f32_e32 v94, v96, v98
	v_fma_f32 v96, -0.5, v102, v93
	v_fmac_f32_e32 v93, -0.5, v105
	v_add_f32_e32 v98, v110, v112
	v_fma_f32 v105, -0.5, v121, v99
	v_fmac_f32_e32 v99, -0.5, v122
	v_add_f32_e32 v4, v4, v103
	v_fmamk_f32 v112, v104, 0x3f737871, v24
	v_fmac_f32_e32 v24, 0xbf737871, v104
	v_fmamk_f32 v114, v85, 0xbf737871, v13
	v_fmac_f32_e32 v13, 0x3f737871, v85
	v_add_f32_e32 v6, v10, v6
	v_add_f32_e32 v10, v33, v119
	;; [unrolled: 1-line block ×3, first 2 shown]
	v_fmamk_f32 v33, v15, 0xbf737871, v35
	v_fmac_f32_e32 v83, 0x3f167918, v76
	v_add_f32_e32 v36, v36, v38
	v_sub_f32_e32 v38, v103, v109
	v_add_f32_e32 v12, v16, v12
	v_add_f32_e32 v16, v27, v111
	;; [unrolled: 1-line block ×3, first 2 shown]
	v_fmamk_f32 v27, v72, 0x3f737871, v19
	v_fmac_f32_e32 v19, 0xbf737871, v72
	v_fmamk_f32 v30, v97, 0x3f737871, v28
	v_fmac_f32_e32 v28, 0xbf737871, v97
	;; [unrolled: 2-line block ×3, first 2 shown]
	v_fmac_f32_e32 v88, 0x3f167918, v101
	v_fmac_f32_e32 v89, 0xbf167918, v101
	;; [unrolled: 1-line block ×4, first 2 shown]
	v_sub_f32_e32 v118, v74, v119
	v_sub_f32_e32 v125, v119, v74
	;; [unrolled: 1-line block ×3, first 2 shown]
	v_add_f32_e32 v23, v126, v23
	v_add_f32_e32 v4, v4, v109
	;; [unrolled: 1-line block ×3, first 2 shown]
	v_fmamk_f32 v5, v73, 0xbf737871, v21
	v_fmac_f32_e32 v21, 0x3f737871, v73
	v_fmamk_f32 v109, v9, 0xbf737871, v105
	v_fmac_f32_e32 v105, 0x3f737871, v9
	;; [unrolled: 2-line block ×3, first 2 shown]
	v_fmac_f32_e32 v112, 0x3f167918, v85
	v_fmac_f32_e32 v24, 0xbf167918, v85
	;; [unrolled: 1-line block ×5, first 2 shown]
	v_add_f32_e32 v2, v6, v2
	v_add_f32_e32 v1, v1, v3
	v_fmac_f32_e32 v83, 0x3e9e377a, v78
	v_fmac_f32_e32 v27, 0xbf167918, v73
	;; [unrolled: 1-line block ×3, first 2 shown]
	v_add_f32_e32 v8, v12, v8
	v_fmac_f32_e32 v30, 0x3f167918, v38
	v_fmac_f32_e32 v28, 0xbf167918, v38
	v_fmac_f32_e32 v34, 0xbf167918, v15
	v_fmac_f32_e32 v95, 0x3f167918, v15
	v_add_f32_e32 v7, v7, v20
	v_fmac_f32_e32 v88, 0x3e9e377a, v81
	v_fmac_f32_e32 v89, 0x3e9e377a, v81
	;; [unrolled: 1-line block ×4, first 2 shown]
	v_sub_f32_e32 v80, v106, v116
	v_add_f32_e32 v102, v115, v118
	v_add_f32_e32 v110, v124, v125
	v_fmamk_f32 v31, v38, 0xbf737871, v37
	v_fmac_f32_e32 v37, 0x3f737871, v38
	v_fmamk_f32 v103, v14, 0xbf737871, v86
	v_fmac_f32_e32 v86, 0x3f737871, v14
	v_fmamk_f32 v106, v82, 0x3f737871, v71
	v_fmac_f32_e32 v71, 0xbf737871, v82
	v_add_f32_e32 v4, v4, v113
	v_fmac_f32_e32 v5, 0xbf167918, v72
	v_fmac_f32_e32 v21, 0x3f167918, v72
	v_add_f32_e32 v12, v16, v117
	v_add_f32_e32 v11, v11, v120
	;; [unrolled: 1-line block ×3, first 2 shown]
	v_fmac_f32_e32 v109, 0xbf167918, v87
	v_fmac_f32_e32 v105, 0x3f167918, v87
	;; [unrolled: 1-line block ×9, first 2 shown]
	v_add_f32_e32 v23, v2, v1
	v_sub_f32_e32 v26, v2, v1
	v_mul_f32_e32 v1, 0xbf167918, v83
	v_fmac_f32_e32 v27, 0x3e9e377a, v25
	v_fmac_f32_e32 v19, 0x3e9e377a, v25
	;; [unrolled: 1-line block ×6, first 2 shown]
	v_add_f32_e32 v25, v8, v7
	v_sub_f32_e32 v29, v8, v7
	v_mul_f32_e32 v2, 0xbf737871, v88
	v_mul_f32_e32 v8, 0xbf737871, v89
	v_fmac_f32_e32 v35, 0x3e9e377a, v36
	v_mul_f32_e32 v9, 0xbf167918, v77
	v_fmac_f32_e32 v31, 0x3f167918, v97
	v_fmac_f32_e32 v37, 0xbf167918, v97
	v_fmac_f32_e32 v103, 0xbf167918, v82
	v_fmac_f32_e32 v86, 0x3f167918, v82
	v_fmac_f32_e32 v106, 0xbf167918, v14
	v_fmac_f32_e32 v71, 0x3f167918, v14
	v_fmac_f32_e32 v5, 0x3e9e377a, v22
	v_fmac_f32_e32 v21, 0x3e9e377a, v22
	v_add_f32_e32 v3, v4, v12
	v_sub_f32_e32 v4, v4, v12
	v_fmac_f32_e32 v109, 0x3e9e377a, v102
	v_fmac_f32_e32 v105, 0x3e9e377a, v102
	;; [unrolled: 1-line block ×4, first 2 shown]
	v_add_f32_e32 v7, v11, v6
	v_sub_f32_e32 v6, v11, v6
	v_mul_f32_e32 v10, 0x3f4f1bbd, v83
	v_mul_f32_e32 v11, 0x3e9e377a, v88
	;; [unrolled: 1-line block ×8, first 2 shown]
	v_fmac_f32_e32 v1, 0x3f4f1bbd, v33
	v_fmac_f32_e32 v2, 0x3e9e377a, v34
	;; [unrolled: 1-line block ×18, first 2 shown]
	v_mul_f32_e32 v38, 0xbe9e377a, v13
	v_add_f32_e32 v13, v5, v1
	v_add_f32_e32 v33, v27, v2
	;; [unrolled: 1-line block ×4, first 2 shown]
	v_sub_f32_e32 v1, v5, v1
	v_sub_f32_e32 v2, v27, v2
	v_add_f32_e32 v72, v30, v10
	v_add_f32_e32 v73, v31, v11
	;; [unrolled: 1-line block ×4, first 2 shown]
	v_sub_f32_e32 v5, v19, v8
	v_sub_f32_e32 v8, v21, v9
	;; [unrolled: 1-line block ×6, first 2 shown]
	v_add_f32_e32 v9, v103, v15
	v_add_f32_e32 v10, v106, v16
	;; [unrolled: 1-line block ×4, first 2 shown]
	v_sub_f32_e32 v14, v103, v15
	v_sub_f32_e32 v15, v106, v16
	v_sub_f32_e32 v16, v71, v20
	v_sub_f32_e32 v19, v86, v22
	ds_write2st64_b32 v91, v3, v13 offset1:1
	ds_write2st64_b32 v91, v33, v34 offset0:2 offset1:3
	ds_write2st64_b32 v91, v35, v4 offset0:4 offset1:5
	;; [unrolled: 1-line block ×4, first 2 shown]
	ds_write2st64_b32 v92, v7, v9 offset1:1
	ds_write2st64_b32 v92, v10, v11 offset0:2 offset1:3
	ds_write2st64_b32 v92, v12, v6 offset0:4 offset1:5
	;; [unrolled: 1-line block ×4, first 2 shown]
	s_waitcnt lgkmcnt(0)
	s_barrier
	buffer_gl0_inv
	ds_read2st64_b32 v[9:10], v39 offset1:10
	ds_read2st64_b32 v[1:2], v39 offset0:20 offset1:22
	ds_read2st64_b32 v[15:16], v39 offset0:28 offset1:30
	;; [unrolled: 1-line block ×7, first 2 shown]
	ds_read_b32 v19, v67
	ds_read_b32 v20, v68
	;; [unrolled: 1-line block ×4, first 2 shown]
	v_sub_f32_e32 v100, v100, v120
	v_fmamk_f32 v108, v80, 0xbf737871, v93
	v_fmac_f32_e32 v93, 0x3f737871, v80
	v_mul_f32_e32 v32, 0x3f4f1bbd, v112
	v_mul_f32_e32 v36, 0x3e9e377a, v114
	v_fmamk_f32 v107, v100, 0x3f737871, v96
	v_fmac_f32_e32 v96, 0xbf737871, v100
	v_fmac_f32_e32 v108, 0x3f167918, v100
	;; [unrolled: 1-line block ×3, first 2 shown]
	v_mul_f32_e32 v24, 0xbf4f1bbd, v24
	v_fmac_f32_e32 v107, 0x3f167918, v80
	v_fmac_f32_e32 v96, 0xbf167918, v80
	;; [unrolled: 1-line block ×10, first 2 shown]
	v_add_f32_e32 v37, v107, v32
	v_sub_f32_e32 v32, v107, v32
	v_add_f32_e32 v76, v108, v36
	v_add_f32_e32 v77, v93, v38
	;; [unrolled: 1-line block ×3, first 2 shown]
	v_sub_f32_e32 v33, v108, v36
	v_sub_f32_e32 v34, v93, v38
	;; [unrolled: 1-line block ×3, first 2 shown]
	s_waitcnt lgkmcnt(0)
	s_barrier
	buffer_gl0_inv
	ds_write2st64_b32 v91, v25, v72 offset1:1
	ds_write2st64_b32 v91, v73, v74 offset0:2 offset1:3
	ds_write2st64_b32 v91, v75, v29 offset0:4 offset1:5
	;; [unrolled: 1-line block ×4, first 2 shown]
	ds_write2st64_b32 v92, v23, v37 offset1:1
	ds_write2st64_b32 v92, v76, v77 offset0:2 offset1:3
	ds_write2st64_b32 v92, v78, v26 offset0:4 offset1:5
	;; [unrolled: 1-line block ×4, first 2 shown]
	s_waitcnt lgkmcnt(0)
	s_barrier
	buffer_gl0_inv
	s_and_saveexec_b32 s0, vcc_lo
	s_cbranch_execz .LBB0_15
; %bb.14:
	v_mul_i32_i24_e32 v67, 3, v65
	v_mov_b32_e32 v68, 0
	v_mul_u32_u24_e32 v25, 3, v0
	v_mul_i32_i24_e32 v109, -12, v64
	v_mul_i32_i24_e32 v110, -12, v63
	v_mad_u64_u32 v[81:82], null, s2, v60, 0
	v_lshlrev_b64 v[23:24], 3, v[67:68]
	v_lshlrev_b32_e32 v25, 3, v25
	v_mul_i32_i24_e32 v67, 3, v63
	v_mad_u64_u32 v[83:84], null, s2, v61, 0
	v_mad_u64_u32 v[85:86], null, s2, v59, 0
	v_add_co_u32 v31, vcc_lo, s8, v23
	v_add_co_ci_u32_e32 v32, vcc_lo, s9, v24, vcc_lo
	v_add_co_u32 v25, s0, s8, v25
	v_add_co_ci_u32_e64 v26, null, s9, 0, s0
	v_add_co_u32 v27, vcc_lo, 0x1000, v31
	v_add_co_ci_u32_e32 v28, vcc_lo, 0, v32, vcc_lo
	v_add_co_u32 v23, vcc_lo, 0x1000, v25
	v_add_co_ci_u32_e32 v24, vcc_lo, 0, v26, vcc_lo
	v_add_co_u32 v29, vcc_lo, 0x13e0, v25
	v_lshlrev_b64 v[33:34], 3, v[67:68]
	v_add_co_ci_u32_e32 v30, vcc_lo, 0, v26, vcc_lo
	v_add_co_u32 v31, vcc_lo, 0x13e0, v31
	v_add_co_ci_u32_e32 v32, vcc_lo, 0, v32, vcc_lo
	v_add_co_u32 v33, vcc_lo, s8, v33
	v_mul_i32_i24_e32 v67, 3, v64
	v_add_co_ci_u32_e32 v34, vcc_lo, s9, v34, vcc_lo
	s_clause 0x3
	global_load_dwordx4 v[23:26], v[23:24], off offset:992
	global_load_dwordx2 v[71:72], v[29:30], off offset:16
	global_load_dwordx4 v[27:30], v[27:28], off offset:992
	global_load_dwordx2 v[73:74], v[31:32], off offset:16
	v_add_co_u32 v31, vcc_lo, 0x1000, v33
	v_lshlrev_b64 v[37:38], 3, v[67:68]
	v_add_co_ci_u32_e32 v32, vcc_lo, 0, v34, vcc_lo
	v_add_co_u32 v35, vcc_lo, 0x13e0, v33
	v_add_co_ci_u32_e32 v36, vcc_lo, 0, v34, vcc_lo
	v_add_co_u32 v37, vcc_lo, s8, v37
	v_add_co_ci_u32_e32 v38, vcc_lo, s9, v38, vcc_lo
	v_mul_i32_i24_e32 v67, 3, v62
	s_clause 0x1
	global_load_dwordx4 v[31:34], v[31:32], off offset:992
	global_load_dwordx2 v[75:76], v[35:36], off offset:16
	v_add_co_u32 v35, vcc_lo, 0x1000, v37
	v_add_co_ci_u32_e32 v36, vcc_lo, 0, v38, vcc_lo
	v_add_co_u32 v69, vcc_lo, 0x13e0, v37
	v_lshlrev_b64 v[67:68], 3, v[67:68]
	v_add_co_ci_u32_e32 v70, vcc_lo, 0, v38, vcc_lo
	s_clause 0x1
	global_load_dwordx4 v[35:38], v[35:36], off offset:992
	global_load_dwordx2 v[77:78], v[69:70], off offset:16
	v_add_co_u32 v69, vcc_lo, s8, v67
	v_add_co_ci_u32_e32 v70, vcc_lo, s9, v68, vcc_lo
	v_mad_u64_u32 v[63:64], null, s2, v0, 0
	v_add_co_u32 v67, vcc_lo, 0x1000, v69
	v_add_co_ci_u32_e32 v68, vcc_lo, 0, v70, vcc_lo
	v_add_co_u32 v79, vcc_lo, 0x13e0, v69
	v_add_co_ci_u32_e32 v80, vcc_lo, 0, v70, vcc_lo
	s_clause 0x1
	global_load_dwordx4 v[67:70], v[67:68], off offset:992
	global_load_dwordx2 v[79:80], v[79:80], off offset:16
	v_mul_i32_i24_e32 v62, -12, v62
	v_mad_u64_u32 v[87:88], null, s2, v53, 0
	v_mad_u64_u32 v[89:90], null, s2, v58, 0
	;; [unrolled: 1-line block ×3, first 2 shown]
	v_mul_i32_i24_e32 v65, -12, v65
	v_add_co_u32 v118, vcc_lo, s12, v17
	v_add_nc_u32_e32 v122, v41, v109
	v_add_nc_u32_e32 v123, v40, v62
	v_mov_b32_e32 v40, v64
	v_mov_b32_e32 v41, v82
	v_add_co_ci_u32_e32 v119, vcc_lo, s13, v18, vcc_lo
	v_mad_u64_u32 v[17:18], null, s2, v57, 0
	v_mad_u64_u32 v[99:100], null, s2, v51, 0
	v_add_nc_u32_e32 v121, v42, v110
	v_mov_b32_e32 v42, v84
	v_mov_b32_e32 v62, v86
	v_add_nc_u32_e32 v120, v66, v65
	v_mov_b32_e32 v64, v88
	v_mov_b32_e32 v65, v90
	v_mad_u64_u32 v[109:110], null, s3, v0, v[40:41]
	v_mov_b32_e32 v0, v92
	v_mad_u64_u32 v[40:41], null, s3, v60, v[41:42]
	v_mad_u64_u32 v[59:60], null, s3, v59, v[62:63]
	;; [unrolled: 1-line block ×8, first 2 shown]
	v_mov_b32_e32 v0, v100
	v_mad_u64_u32 v[95:96], null, s2, v54, 0
	v_mad_u64_u32 v[97:98], null, s2, v55, 0
	;; [unrolled: 1-line block ×3, first 2 shown]
	ds_read2st64_b32 v[101:102], v39 offset0:28 offset1:30
	ds_read2st64_b32 v[103:104], v39 offset0:16 offset1:18
	;; [unrolled: 1-line block ×4, first 2 shown]
	v_mov_b32_e32 v86, v59
	ds_read2st64_b32 v[58:59], v39 offset0:20 offset1:22
	ds_read2st64_b32 v[116:117], v39 offset1:10
	v_mov_b32_e32 v42, v94
	v_mov_b32_e32 v53, v96
	;; [unrolled: 1-line block ×3, first 2 shown]
	v_mad_u64_u32 v[113:114], null, s2, v50, 0
	v_mad_u64_u32 v[110:111], null, s3, v52, v[42:43]
	;; [unrolled: 1-line block ×4, first 2 shown]
	ds_read2st64_b32 v[111:112], v39 offset0:12 offset1:14
	ds_read2st64_b32 v[54:55], v39 offset0:32 offset1:34
	v_mov_b32_e32 v82, v40
	v_mov_b32_e32 v84, v41
	v_mad_u64_u32 v[40:41], null, s2, v49, 0
	v_mov_b32_e32 v64, v109
	v_mov_b32_e32 v0, v114
	ds_read_b32 v66, v120
	ds_read_b32 v109, v121
	ds_read_b32 v114, v122
	ds_read_b32 v120, v123
	v_mov_b32_e32 v92, v65
	v_mov_b32_e32 v94, v110
	;; [unrolled: 1-line block ×4, first 2 shown]
	v_mad_u64_u32 v[41:42], null, s3, v50, v[0:1]
	v_mov_b32_e32 v96, v52
	v_mov_b32_e32 v98, v53
	v_lshlrev_b64 v[52:53], 3, v[81:82]
	v_lshlrev_b64 v[56:57], 3, v[83:84]
	;; [unrolled: 1-line block ×5, first 2 shown]
	v_mov_b32_e32 v88, v60
	v_mov_b32_e32 v18, v61
	v_lshlrev_b64 v[60:61], 3, v[85:86]
	v_lshlrev_b64 v[64:65], 3, v[89:90]
	;; [unrolled: 1-line block ×3, first 2 shown]
	v_add_co_u32 v50, vcc_lo, v118, v50
	v_add_co_ci_u32_e32 v51, vcc_lo, v119, v51, vcc_lo
	v_add_co_u32 v52, vcc_lo, v118, v52
	v_add_co_ci_u32_e32 v53, vcc_lo, v119, v53, vcc_lo
	v_lshlrev_b64 v[62:63], 3, v[87:88]
	v_add_co_u32 v56, vcc_lo, v118, v56
	v_add_co_ci_u32_e32 v57, vcc_lo, v119, v57, vcc_lo
	v_lshlrev_b64 v[17:18], 3, v[17:18]
	v_add_co_u32 v60, vcc_lo, v118, v60
	v_add_co_ci_u32_e32 v61, vcc_lo, v119, v61, vcc_lo
	v_add_co_u32 v62, vcc_lo, v118, v62
	v_add_co_ci_u32_e32 v63, vcc_lo, v119, v63, vcc_lo
	;; [unrolled: 2-line block ×7, first 2 shown]
	v_mov_b32_e32 v100, v115
	v_lshlrev_b64 v[87:88], 3, v[97:98]
	v_lshlrev_b64 v[89:90], 3, v[99:100]
	s_waitcnt vmcnt(8) lgkmcnt(11)
	v_mul_f32_e32 v91, v72, v102
	v_mul_f32_e32 v0, v1, v26
	s_waitcnt lgkmcnt(6)
	v_mul_f32_e32 v42, v24, v117
	v_mul_f32_e32 v26, v58, v26
	;; [unrolled: 1-line block ×4, first 2 shown]
	s_waitcnt vmcnt(7)
	v_mul_f32_e32 v92, v15, v30
	v_mul_f32_e32 v30, v101, v30
	;; [unrolled: 1-line block ×4, first 2 shown]
	s_waitcnt vmcnt(6)
	v_mul_f32_e32 v94, v74, v106
	v_mul_f32_e32 v74, v12, v74
	v_fma_f32 v0, v25, v58, -v0
	v_fmac_f32_e32 v42, v10, v23
	v_fmac_f32_e32 v26, v1, v25
	v_fma_f32 v10, v23, v117, -v24
	v_fmac_f32_e32 v91, v16, v71
	v_fma_f32 v1, v71, v102, -v72
	v_fma_f32 v16, v29, v101, -v92
	v_fmac_f32_e32 v30, v15, v29
	v_fmac_f32_e32 v93, v14, v27
	v_fma_f32 v14, v27, v104, -v28
	v_fmac_f32_e32 v94, v12, v73
	s_waitcnt vmcnt(5)
	v_mul_f32_e32 v24, v32, v103
	v_fma_f32 v12, v73, v106, -v74
	v_mul_f32_e32 v15, v13, v32
	s_waitcnt vmcnt(4)
	v_mul_f32_e32 v23, v76, v105
	v_mul_f32_e32 v25, v8, v34
	;; [unrolled: 1-line block ×4, first 2 shown]
	v_sub_f32_e32 v29, v116, v0
	v_sub_f32_e32 v32, v42, v91
	v_sub_f32_e32 v26, v9, v26
	v_sub_f32_e32 v34, v10, v1
	v_fmac_f32_e32 v24, v13, v31
	v_fma_f32 v31, v31, v103, -v15
	v_fmac_f32_e32 v23, v11, v75
	s_waitcnt lgkmcnt(3)
	v_sub_f32_e32 v13, v66, v16
	v_sub_f32_e32 v11, v93, v94
	;; [unrolled: 1-line block ×4, first 2 shown]
	v_fma_f32 v16, v33, v108, -v25
	v_fmac_f32_e32 v27, v8, v33
	v_fma_f32 v25, v75, v105, -v28
	s_waitcnt vmcnt(3)
	v_mul_f32_e32 v28, v7, v38
	v_mul_f32_e32 v30, v36, v112
	s_waitcnt vmcnt(2)
	v_mul_f32_e32 v33, v78, v55
	v_mul_f32_e32 v38, v107, v38
	;; [unrolled: 1-line block ×4, first 2 shown]
	v_sub_f32_e32 v1, v29, v32
	v_add_f32_e32 v0, v26, v34
	v_fma_f32 v71, v116, 2.0, -v29
	v_fma_f32 v10, v10, 2.0, -v34
	;; [unrolled: 1-line block ×4, first 2 shown]
	v_add_f32_e32 v8, v15, v12
	v_fma_f32 v42, v66, 2.0, -v13
	v_fma_f32 v14, v14, 2.0, -v12
	;; [unrolled: 1-line block ×4, first 2 shown]
	s_waitcnt lgkmcnt(2)
	v_sub_f32_e32 v16, v109, v16
	v_sub_f32_e32 v72, v24, v23
	;; [unrolled: 1-line block ×4, first 2 shown]
	v_fma_f32 v28, v37, v107, -v28
	v_fmac_f32_e32 v30, v4, v35
	v_fmac_f32_e32 v33, v6, v77
	;; [unrolled: 1-line block ×3, first 2 shown]
	v_fma_f32 v35, v35, v112, -v36
	v_fma_f32 v4, v77, v55, -v58
	s_waitcnt vmcnt(1)
	v_mul_f32_e32 v36, v2, v70
	v_mul_f32_e32 v37, v68, v111
	s_waitcnt vmcnt(0)
	v_mul_f32_e32 v55, v80, v54
	v_mul_f32_e32 v58, v59, v70
	;; [unrolled: 1-line block ×4, first 2 shown]
	v_sub_f32_e32 v9, v13, v11
	v_fma_f32 v7, v29, 2.0, -v1
	v_fma_f32 v6, v26, 2.0, -v0
	v_sub_f32_e32 v11, v71, v10
	v_sub_f32_e32 v10, v34, v32
	v_fma_f32 v12, v15, 2.0, -v8
	v_sub_f32_e32 v15, v42, v14
	v_sub_f32_e32 v14, v66, v22
	;; [unrolled: 1-line block ×3, first 2 shown]
	v_add_f32_e32 v22, v27, v25
	v_fma_f32 v32, v109, 2.0, -v16
	v_fma_f32 v26, v31, 2.0, -v25
	;; [unrolled: 1-line block ×4, first 2 shown]
	s_waitcnt lgkmcnt(1)
	v_sub_f32_e32 v31, v114, v28
	v_sub_f32_e32 v33, v30, v33
	v_sub_f32_e32 v38, v20, v38
	v_sub_f32_e32 v72, v35, v4
	v_fma_f32 v36, v69, v59, -v36
	v_fmac_f32_e32 v37, v3, v67
	v_fmac_f32_e32 v55, v5, v79
	v_fmac_f32_e32 v58, v2, v69
	v_fma_f32 v59, v67, v111, -v68
	v_fma_f32 v54, v79, v54, -v70
	v_fma_f32 v3, v71, 2.0, -v11
	v_fma_f32 v2, v34, 2.0, -v10
	;; [unrolled: 1-line block ×4, first 2 shown]
	v_sub_f32_e32 v27, v32, v26
	v_sub_f32_e32 v26, v21, v29
	;; [unrolled: 1-line block ×3, first 2 shown]
	v_fma_f32 v34, v35, 2.0, -v72
	v_fma_f32 v42, v20, 2.0, -v38
	;; [unrolled: 1-line block ×3, first 2 shown]
	s_waitcnt lgkmcnt(0)
	v_sub_f32_e32 v33, v120, v36
	v_sub_f32_e32 v20, v37, v55
	;; [unrolled: 1-line block ×4, first 2 shown]
	global_store_dwordx2 v[50:51], v[2:3], off
	global_store_dwordx2 v[52:53], v[6:7], off
	;; [unrolled: 1-line block ×4, first 2 shown]
	v_fma_f32 v0, v21, 2.0, -v26
	v_fma_f32 v2, v120, 2.0, -v33
	;; [unrolled: 1-line block ×7, first 2 shown]
	v_sub_f32_e32 v11, v33, v20
	v_sub_f32_e32 v20, v2, v6
	;; [unrolled: 1-line block ×3, first 2 shown]
	v_add_f32_e32 v10, v35, v36
	v_add_f32_e32 v28, v38, v72
	v_sub_f32_e32 v7, v16, v34
	v_sub_f32_e32 v6, v42, v30
	v_fma_f32 v1, v32, 2.0, -v27
	v_fma_f32 v3, v31, 2.0, -v29
	;; [unrolled: 1-line block ×9, first 2 shown]
	global_store_dwordx2 v[62:63], v[32:33], off
	global_store_dwordx2 v[17:18], v[30:31], off
	;; [unrolled: 1-line block ×6, first 2 shown]
	v_mad_u64_u32 v[2:3], null, s3, v49, v[39:40]
	v_mad_u64_u32 v[10:11], null, s2, v48, 0
	v_mov_b32_e32 v114, v41
	v_add_co_u32 v16, vcc_lo, v118, v87
	v_add_co_ci_u32_e32 v17, vcc_lo, v119, v88, vcc_lo
	v_mov_b32_e32 v41, v2
	v_mov_b32_e32 v2, v11
	v_lshlrev_b64 v[18:19], 3, v[113:114]
	v_add_co_u32 v20, vcc_lo, v118, v89
	v_lshlrev_b64 v[30:31], 3, v[40:41]
	v_mad_u64_u32 v[2:3], null, s3, v48, v[2:3]
	v_add_co_ci_u32_e32 v21, vcc_lo, v119, v90, vcc_lo
	v_mad_u64_u32 v[32:33], null, s2, v47, 0
	v_add_co_u32 v18, vcc_lo, v118, v18
	v_add_co_ci_u32_e32 v19, vcc_lo, v119, v19, vcc_lo
	v_add_co_u32 v30, vcc_lo, v118, v30
	v_mov_b32_e32 v11, v2
	v_add_co_ci_u32_e32 v31, vcc_lo, v119, v31, vcc_lo
	global_store_dwordx2 v[16:17], v[6:7], off
	global_store_dwordx2 v[20:21], v[28:29], off
	;; [unrolled: 1-line block ×4, first 2 shown]
	v_mov_b32_e32 v2, v33
	v_mad_u64_u32 v[6:7], null, s2, v43, 0
	v_lshlrev_b64 v[0:1], 3, v[10:11]
	v_mad_u64_u32 v[10:11], null, s2, v46, 0
	v_mad_u64_u32 v[2:3], null, s3, v47, v[2:3]
	;; [unrolled: 1-line block ×3, first 2 shown]
	v_fma_f32 v4, v66, 2.0, -v14
	v_add_co_u32 v0, vcc_lo, v118, v0
	v_mov_b32_e32 v3, v7
	v_add_co_ci_u32_e32 v1, vcc_lo, v119, v1, vcc_lo
	v_mov_b32_e32 v7, v11
	v_mov_b32_e32 v33, v2
	v_mad_u64_u32 v[18:19], null, s3, v43, v[3:4]
	v_mad_u64_u32 v[2:3], null, s2, v44, 0
	global_store_dwordx2 v[0:1], v[26:27], off
	v_mov_b32_e32 v0, v17
	v_mad_u64_u32 v[19:20], null, s3, v46, v[7:8]
	v_lshlrev_b64 v[20:21], 3, v[32:33]
	v_mov_b32_e32 v7, v18
	v_mad_u64_u32 v[0:1], null, s3, v45, v[0:1]
	v_mov_b32_e32 v1, v3
	v_fma_f32 v13, v13, 2.0, -v9
	v_add_co_u32 v18, vcc_lo, v118, v20
	v_mov_b32_e32 v11, v19
	v_add_co_ci_u32_e32 v19, vcc_lo, v119, v21, vcc_lo
	v_mad_u64_u32 v[20:21], null, s3, v44, v[1:2]
	v_lshlrev_b64 v[6:7], 3, v[6:7]
	v_mov_b32_e32 v17, v0
	v_lshlrev_b64 v[10:11], 3, v[10:11]
	v_add_co_u32 v0, vcc_lo, v118, v6
	v_mov_b32_e32 v3, v20
	v_add_co_ci_u32_e32 v1, vcc_lo, v119, v7, vcc_lo
	v_lshlrev_b64 v[6:7], 3, v[16:17]
	v_add_co_u32 v10, vcc_lo, v118, v10
	v_lshlrev_b64 v[2:3], 3, v[2:3]
	v_add_co_ci_u32_e32 v11, vcc_lo, v119, v11, vcc_lo
	v_add_co_u32 v6, vcc_lo, v118, v6
	v_add_co_ci_u32_e32 v7, vcc_lo, v119, v7, vcc_lo
	v_add_co_u32 v2, vcc_lo, v118, v2
	v_add_co_ci_u32_e32 v3, vcc_lo, v119, v3, vcc_lo
	global_store_dwordx2 v[18:19], v[22:23], off
	global_store_dwordx2 v[0:1], v[4:5], off
	;; [unrolled: 1-line block ×5, first 2 shown]
.LBB0_15:
	s_endpgm
	.section	.rodata,"a",@progbits
	.p2align	6, 0x0
	.amdhsa_kernel fft_rtc_back_len2560_factors_4_4_4_10_4_wgs_128_tpt_128_halfLds_sp_ip_CI_sbrr_dirReg
		.amdhsa_group_segment_fixed_size 0
		.amdhsa_private_segment_fixed_size 0
		.amdhsa_kernarg_size 88
		.amdhsa_user_sgpr_count 6
		.amdhsa_user_sgpr_private_segment_buffer 1
		.amdhsa_user_sgpr_dispatch_ptr 0
		.amdhsa_user_sgpr_queue_ptr 0
		.amdhsa_user_sgpr_kernarg_segment_ptr 1
		.amdhsa_user_sgpr_dispatch_id 0
		.amdhsa_user_sgpr_flat_scratch_init 0
		.amdhsa_user_sgpr_private_segment_size 0
		.amdhsa_wavefront_size32 1
		.amdhsa_uses_dynamic_stack 0
		.amdhsa_system_sgpr_private_segment_wavefront_offset 0
		.amdhsa_system_sgpr_workgroup_id_x 1
		.amdhsa_system_sgpr_workgroup_id_y 0
		.amdhsa_system_sgpr_workgroup_id_z 0
		.amdhsa_system_sgpr_workgroup_info 0
		.amdhsa_system_vgpr_workitem_id 0
		.amdhsa_next_free_vgpr 127
		.amdhsa_next_free_sgpr 23
		.amdhsa_reserve_vcc 1
		.amdhsa_reserve_flat_scratch 0
		.amdhsa_float_round_mode_32 0
		.amdhsa_float_round_mode_16_64 0
		.amdhsa_float_denorm_mode_32 3
		.amdhsa_float_denorm_mode_16_64 3
		.amdhsa_dx10_clamp 1
		.amdhsa_ieee_mode 1
		.amdhsa_fp16_overflow 0
		.amdhsa_workgroup_processor_mode 1
		.amdhsa_memory_ordered 1
		.amdhsa_forward_progress 0
		.amdhsa_shared_vgpr_count 0
		.amdhsa_exception_fp_ieee_invalid_op 0
		.amdhsa_exception_fp_denorm_src 0
		.amdhsa_exception_fp_ieee_div_zero 0
		.amdhsa_exception_fp_ieee_overflow 0
		.amdhsa_exception_fp_ieee_underflow 0
		.amdhsa_exception_fp_ieee_inexact 0
		.amdhsa_exception_int_div_zero 0
	.end_amdhsa_kernel
	.text
.Lfunc_end0:
	.size	fft_rtc_back_len2560_factors_4_4_4_10_4_wgs_128_tpt_128_halfLds_sp_ip_CI_sbrr_dirReg, .Lfunc_end0-fft_rtc_back_len2560_factors_4_4_4_10_4_wgs_128_tpt_128_halfLds_sp_ip_CI_sbrr_dirReg
                                        ; -- End function
	.section	.AMDGPU.csdata,"",@progbits
; Kernel info:
; codeLenInByte = 11052
; NumSgprs: 25
; NumVgprs: 127
; ScratchSize: 0
; MemoryBound: 0
; FloatMode: 240
; IeeeMode: 1
; LDSByteSize: 0 bytes/workgroup (compile time only)
; SGPRBlocks: 3
; VGPRBlocks: 15
; NumSGPRsForWavesPerEU: 25
; NumVGPRsForWavesPerEU: 127
; Occupancy: 8
; WaveLimiterHint : 1
; COMPUTE_PGM_RSRC2:SCRATCH_EN: 0
; COMPUTE_PGM_RSRC2:USER_SGPR: 6
; COMPUTE_PGM_RSRC2:TRAP_HANDLER: 0
; COMPUTE_PGM_RSRC2:TGID_X_EN: 1
; COMPUTE_PGM_RSRC2:TGID_Y_EN: 0
; COMPUTE_PGM_RSRC2:TGID_Z_EN: 0
; COMPUTE_PGM_RSRC2:TIDIG_COMP_CNT: 0
	.text
	.p2alignl 6, 3214868480
	.fill 48, 4, 3214868480
	.type	__hip_cuid_936a81fde244de24,@object ; @__hip_cuid_936a81fde244de24
	.section	.bss,"aw",@nobits
	.globl	__hip_cuid_936a81fde244de24
__hip_cuid_936a81fde244de24:
	.byte	0                               ; 0x0
	.size	__hip_cuid_936a81fde244de24, 1

	.ident	"AMD clang version 19.0.0git (https://github.com/RadeonOpenCompute/llvm-project roc-6.4.0 25133 c7fe45cf4b819c5991fe208aaa96edf142730f1d)"
	.section	".note.GNU-stack","",@progbits
	.addrsig
	.addrsig_sym __hip_cuid_936a81fde244de24
	.amdgpu_metadata
---
amdhsa.kernels:
  - .args:
      - .actual_access:  read_only
        .address_space:  global
        .offset:         0
        .size:           8
        .value_kind:     global_buffer
      - .offset:         8
        .size:           8
        .value_kind:     by_value
      - .actual_access:  read_only
        .address_space:  global
        .offset:         16
        .size:           8
        .value_kind:     global_buffer
      - .actual_access:  read_only
        .address_space:  global
        .offset:         24
        .size:           8
        .value_kind:     global_buffer
      - .offset:         32
        .size:           8
        .value_kind:     by_value
      - .actual_access:  read_only
        .address_space:  global
        .offset:         40
        .size:           8
        .value_kind:     global_buffer
      - .actual_access:  read_only
        .address_space:  global
        .offset:         48
        .size:           8
        .value_kind:     global_buffer
      - .offset:         56
        .size:           4
        .value_kind:     by_value
      - .actual_access:  read_only
        .address_space:  global
        .offset:         64
        .size:           8
        .value_kind:     global_buffer
      - .actual_access:  read_only
        .address_space:  global
        .offset:         72
        .size:           8
        .value_kind:     global_buffer
      - .address_space:  global
        .offset:         80
        .size:           8
        .value_kind:     global_buffer
    .group_segment_fixed_size: 0
    .kernarg_segment_align: 8
    .kernarg_segment_size: 88
    .language:       OpenCL C
    .language_version:
      - 2
      - 0
    .max_flat_workgroup_size: 128
    .name:           fft_rtc_back_len2560_factors_4_4_4_10_4_wgs_128_tpt_128_halfLds_sp_ip_CI_sbrr_dirReg
    .private_segment_fixed_size: 0
    .sgpr_count:     25
    .sgpr_spill_count: 0
    .symbol:         fft_rtc_back_len2560_factors_4_4_4_10_4_wgs_128_tpt_128_halfLds_sp_ip_CI_sbrr_dirReg.kd
    .uniform_work_group_size: 1
    .uses_dynamic_stack: false
    .vgpr_count:     127
    .vgpr_spill_count: 0
    .wavefront_size: 32
    .workgroup_processor_mode: 1
amdhsa.target:   amdgcn-amd-amdhsa--gfx1030
amdhsa.version:
  - 1
  - 2
...

	.end_amdgpu_metadata
